;; amdgpu-corpus repo=ROCm/rocm-libraries kind=compiled arch=gfx906 opt=O3
	.amdgcn_target "amdgcn-amd-amdhsa--gfx906"
	.amdhsa_code_object_version 6
	.text
	.protected	MIOpenBatchNormFwdTrainPerActivation ; -- Begin function MIOpenBatchNormFwdTrainPerActivation
	.globl	MIOpenBatchNormFwdTrainPerActivation
	.p2align	8
	.type	MIOpenBatchNormFwdTrainPerActivation,@function
MIOpenBatchNormFwdTrainPerActivation:   ; @MIOpenBatchNormFwdTrainPerActivation
; %bb.0:
	s_load_dword s8, s[4:5], 0xc
	s_waitcnt lgkmcnt(0)
	s_cmp_ge_u32 s7, s8
	s_cbranch_scc1 .LBB0_5
; %bb.1:
	s_load_dwordx8 s[16:23], s[4:5], 0x10
	s_load_dwordx2 s[2:3], s[4:5], 0x0
	s_mov_b32 s0, s7
	s_ashr_i32 s7, s6, 31
	s_lshl_b64 s[6:7], s[6:7], 2
	s_waitcnt lgkmcnt(0)
	s_add_u32 s9, s18, s6
	s_addc_u32 s10, s19, s7
	s_add_u32 s11, s20, s6
	s_addc_u32 s12, s21, s7
	s_add_u32 s13, s2, s6
	s_addc_u32 s14, s3, s7
	s_add_u32 s15, s16, s6
	v_cvt_f32_f64_e32 v0, s[22:23]
	s_addc_u32 s16, s17, s7
	s_add_u32 s2, s4, 48
	s_addc_u32 s3, s5, 0
	s_mov_b32 s4, 0
	s_mov_b32 s1, 0
	;; [unrolled: 1-line block ×3, first 2 shown]
	v_mov_b32_e32 v1, 0x180
	v_mov_b32_e32 v2, 0
	s_branch .LBB0_3
.LBB0_2:                                ;   in Loop: Header=BB0_3 Depth=1
	s_andn2_b64 vcc, exec, s[6:7]
	s_cbranch_vccz .LBB0_5
.LBB0_3:                                ; =>This Inner Loop Header: Depth=1
	s_cmp_ge_u32 s0, s8
	s_mov_b64 s[6:7], -1
	s_cbranch_scc1 .LBB0_2
; %bb.4:                                ;   in Loop: Header=BB0_3 Depth=1
	s_lshl_b64 s[6:7], s[0:1], 2
	s_add_u32 s18, s13, s6
	s_addc_u32 s19, s14, s7
	s_load_dword s17, s[18:19], 0x0
	s_add_u32 s18, s9, s6
	s_addc_u32 s19, s10, s7
	s_load_dword s20, s[18:19], 0x0
	s_add_u32 s18, s11, s6
	s_waitcnt lgkmcnt(0)
	v_add_f32_e64 v3, s17, 0
	v_sub_f32_e32 v9, s17, v3
	v_fma_f32 v3, v9, v9, v0
	v_cvt_f64_f32_e32 v[3:4], v3
	s_addc_u32 s19, s12, s7
	s_load_dword s17, s[2:3], 0x4
	s_add_u32 s6, s15, s6
	v_rsq_f64_e32 v[5:6], v[3:4]
	s_load_dword s18, s[18:19], 0x0
	s_addc_u32 s7, s16, s7
	s_waitcnt lgkmcnt(0)
	s_add_i32 s0, s17, s0
	s_cmp_ge_u32 s0, s8
	v_mul_f64 v[3:4], v[5:6], -v[3:4]
	v_cmp_class_f64_e32 vcc, v[5:6], v1
	v_fma_f64 v[3:4], v[3:4], v[5:6], 1.0
	v_mul_f64 v[7:8], v[5:6], v[3:4]
	v_fma_f64 v[3:4], v[3:4], s[4:5], 0.5
	v_fma_f64 v[3:4], v[7:8], v[3:4], v[5:6]
	v_cndmask_b32_e32 v4, v6, v4, vcc
	v_cndmask_b32_e32 v3, v5, v3, vcc
	v_cvt_f32_f64_e32 v3, v[3:4]
	v_mov_b32_e32 v4, s18
	v_mul_f32_e32 v3, v9, v3
	v_fmac_f32_e32 v4, s20, v3
	global_store_dword v2, v4, s[6:7]
	s_cselect_b64 s[6:7], -1, 0
	s_branch .LBB0_2
.LBB0_5:
	s_endpgm
	.section	.rodata,"a",@progbits
	.p2align	6, 0x0
	.amdhsa_kernel MIOpenBatchNormFwdTrainPerActivation
		.amdhsa_group_segment_fixed_size 0
		.amdhsa_private_segment_fixed_size 0
		.amdhsa_kernarg_size 304
		.amdhsa_user_sgpr_count 6
		.amdhsa_user_sgpr_private_segment_buffer 1
		.amdhsa_user_sgpr_dispatch_ptr 0
		.amdhsa_user_sgpr_queue_ptr 0
		.amdhsa_user_sgpr_kernarg_segment_ptr 1
		.amdhsa_user_sgpr_dispatch_id 0
		.amdhsa_user_sgpr_flat_scratch_init 0
		.amdhsa_user_sgpr_private_segment_size 0
		.amdhsa_uses_dynamic_stack 0
		.amdhsa_system_sgpr_private_segment_wavefront_offset 0
		.amdhsa_system_sgpr_workgroup_id_x 1
		.amdhsa_system_sgpr_workgroup_id_y 1
		.amdhsa_system_sgpr_workgroup_id_z 0
		.amdhsa_system_sgpr_workgroup_info 0
		.amdhsa_system_vgpr_workitem_id 0
		.amdhsa_next_free_vgpr 10
		.amdhsa_next_free_sgpr 24
		.amdhsa_reserve_vcc 1
		.amdhsa_reserve_flat_scratch 0
		.amdhsa_float_round_mode_32 0
		.amdhsa_float_round_mode_16_64 0
		.amdhsa_float_denorm_mode_32 3
		.amdhsa_float_denorm_mode_16_64 3
		.amdhsa_dx10_clamp 1
		.amdhsa_ieee_mode 1
		.amdhsa_fp16_overflow 0
		.amdhsa_exception_fp_ieee_invalid_op 0
		.amdhsa_exception_fp_denorm_src 0
		.amdhsa_exception_fp_ieee_div_zero 0
		.amdhsa_exception_fp_ieee_overflow 0
		.amdhsa_exception_fp_ieee_underflow 0
		.amdhsa_exception_fp_ieee_inexact 0
		.amdhsa_exception_int_div_zero 0
	.end_amdhsa_kernel
	.text
.Lfunc_end0:
	.size	MIOpenBatchNormFwdTrainPerActivation, .Lfunc_end0-MIOpenBatchNormFwdTrainPerActivation
                                        ; -- End function
	.set MIOpenBatchNormFwdTrainPerActivation.num_vgpr, 10
	.set MIOpenBatchNormFwdTrainPerActivation.num_agpr, 0
	.set MIOpenBatchNormFwdTrainPerActivation.numbered_sgpr, 24
	.set MIOpenBatchNormFwdTrainPerActivation.num_named_barrier, 0
	.set MIOpenBatchNormFwdTrainPerActivation.private_seg_size, 0
	.set MIOpenBatchNormFwdTrainPerActivation.uses_vcc, 1
	.set MIOpenBatchNormFwdTrainPerActivation.uses_flat_scratch, 0
	.set MIOpenBatchNormFwdTrainPerActivation.has_dyn_sized_stack, 0
	.set MIOpenBatchNormFwdTrainPerActivation.has_recursion, 0
	.set MIOpenBatchNormFwdTrainPerActivation.has_indirect_call, 0
	.section	.AMDGPU.csdata,"",@progbits
; Kernel info:
; codeLenInByte = 348
; TotalNumSgprs: 28
; NumVgprs: 10
; ScratchSize: 0
; MemoryBound: 0
; FloatMode: 240
; IeeeMode: 1
; LDSByteSize: 0 bytes/workgroup (compile time only)
; SGPRBlocks: 3
; VGPRBlocks: 2
; NumSGPRsForWavesPerEU: 28
; NumVGPRsForWavesPerEU: 10
; Occupancy: 10
; WaveLimiterHint : 0
; COMPUTE_PGM_RSRC2:SCRATCH_EN: 0
; COMPUTE_PGM_RSRC2:USER_SGPR: 6
; COMPUTE_PGM_RSRC2:TRAP_HANDLER: 0
; COMPUTE_PGM_RSRC2:TGID_X_EN: 1
; COMPUTE_PGM_RSRC2:TGID_Y_EN: 1
; COMPUTE_PGM_RSRC2:TGID_Z_EN: 0
; COMPUTE_PGM_RSRC2:TIDIG_COMP_CNT: 0
	.section	.AMDGPU.gpr_maximums,"",@progbits
	.set amdgpu.max_num_vgpr, 0
	.set amdgpu.max_num_agpr, 0
	.set amdgpu.max_num_sgpr, 0
	.section	.AMDGPU.csdata,"",@progbits
	.type	__hip_cuid_556c0bc1f8665582,@object ; @__hip_cuid_556c0bc1f8665582
	.section	.bss,"aw",@nobits
	.globl	__hip_cuid_556c0bc1f8665582
__hip_cuid_556c0bc1f8665582:
	.byte	0                               ; 0x0
	.size	__hip_cuid_556c0bc1f8665582, 1

	.ident	"AMD clang version 22.0.0git (https://github.com/RadeonOpenCompute/llvm-project roc-7.2.4 26084 f58b06dce1f9c15707c5f808fd002e18c2accf7e)"
	.section	".note.GNU-stack","",@progbits
	.addrsig
	.addrsig_sym __hip_cuid_556c0bc1f8665582
	.amdgpu_metadata
---
amdhsa.kernels:
  - .args:
      - .actual_access:  read_only
        .address_space:  global
        .offset:         0
        .size:           8
        .value_kind:     global_buffer
      - .offset:         8
        .size:           4
        .value_kind:     by_value
      - .offset:         12
        .size:           4
        .value_kind:     by_value
      - .actual_access:  write_only
        .address_space:  global
        .offset:         16
        .size:           8
        .value_kind:     global_buffer
      - .actual_access:  read_only
        .address_space:  global
        .offset:         24
        .size:           8
        .value_kind:     global_buffer
      - .actual_access:  read_only
        .address_space:  global
        .offset:         32
        .size:           8
        .value_kind:     global_buffer
      - .offset:         40
        .size:           8
        .value_kind:     by_value
      - .offset:         48
        .size:           4
        .value_kind:     hidden_block_count_x
      - .offset:         52
        .size:           4
        .value_kind:     hidden_block_count_y
      - .offset:         56
        .size:           4
        .value_kind:     hidden_block_count_z
      - .offset:         60
        .size:           2
        .value_kind:     hidden_group_size_x
      - .offset:         62
        .size:           2
        .value_kind:     hidden_group_size_y
      - .offset:         64
        .size:           2
        .value_kind:     hidden_group_size_z
      - .offset:         66
        .size:           2
        .value_kind:     hidden_remainder_x
      - .offset:         68
        .size:           2
        .value_kind:     hidden_remainder_y
      - .offset:         70
        .size:           2
        .value_kind:     hidden_remainder_z
      - .offset:         88
        .size:           8
        .value_kind:     hidden_global_offset_x
      - .offset:         96
        .size:           8
        .value_kind:     hidden_global_offset_y
      - .offset:         104
        .size:           8
        .value_kind:     hidden_global_offset_z
      - .offset:         112
        .size:           2
        .value_kind:     hidden_grid_dims
    .group_segment_fixed_size: 0
    .kernarg_segment_align: 8
    .kernarg_segment_size: 304
    .language:       OpenCL C
    .language_version:
      - 2
      - 0
    .max_flat_workgroup_size: 1
    .name:           MIOpenBatchNormFwdTrainPerActivation
    .private_segment_fixed_size: 0
    .sgpr_count:     28
    .sgpr_spill_count: 0
    .symbol:         MIOpenBatchNormFwdTrainPerActivation.kd
    .uniform_work_group_size: 1
    .uses_dynamic_stack: false
    .vgpr_count:     10
    .vgpr_spill_count: 0
    .wavefront_size: 64
amdhsa.target:   amdgcn-amd-amdhsa--gfx906
amdhsa.version:
  - 1
  - 2
...

	.end_amdgpu_metadata
